;; amdgpu-corpus repo=ROCm/rocFFT kind=compiled arch=gfx950 opt=O3
	.text
	.amdgcn_target "amdgcn-amd-amdhsa--gfx950"
	.amdhsa_code_object_version 6
	.protected	fft_rtc_fwd_len320_factors_10_4_4_2_wgs_64_tpt_16_halfLds_dp_op_CI_CI_unitstride_sbrr_R2C_dirReg ; -- Begin function fft_rtc_fwd_len320_factors_10_4_4_2_wgs_64_tpt_16_halfLds_dp_op_CI_CI_unitstride_sbrr_R2C_dirReg
	.globl	fft_rtc_fwd_len320_factors_10_4_4_2_wgs_64_tpt_16_halfLds_dp_op_CI_CI_unitstride_sbrr_R2C_dirReg
	.p2align	8
	.type	fft_rtc_fwd_len320_factors_10_4_4_2_wgs_64_tpt_16_halfLds_dp_op_CI_CI_unitstride_sbrr_R2C_dirReg,@function
fft_rtc_fwd_len320_factors_10_4_4_2_wgs_64_tpt_16_halfLds_dp_op_CI_CI_unitstride_sbrr_R2C_dirReg: ; @fft_rtc_fwd_len320_factors_10_4_4_2_wgs_64_tpt_16_halfLds_dp_op_CI_CI_unitstride_sbrr_R2C_dirReg
; %bb.0:
	s_load_dwordx4 s[4:7], s[0:1], 0x58
	s_load_dwordx4 s[8:11], s[0:1], 0x0
	;; [unrolled: 1-line block ×3, first 2 shown]
	v_lshrrev_b32_e32 v1, 4, v0
	v_lshl_or_b32 v6, s2, 2, v1
	v_mov_b32_e32 v4, 0
	s_waitcnt lgkmcnt(0)
	v_cmp_lt_u64_e64 s[2:3], s[10:11], 2
	v_mov_b32_e32 v7, v4
	s_and_b64 vcc, exec, s[2:3]
	v_mov_b64_e32 v[2:3], 0
	s_cbranch_vccnz .LBB0_8
; %bb.1:
	s_load_dwordx2 s[2:3], s[0:1], 0x10
	s_add_u32 s16, s14, 8
	s_addc_u32 s17, s15, 0
	s_add_u32 s18, s12, 8
	s_addc_u32 s19, s13, 0
	s_waitcnt lgkmcnt(0)
	s_add_u32 s20, s2, 8
	v_mov_b64_e32 v[2:3], 0
	s_addc_u32 s21, s3, 0
	s_mov_b64 s[22:23], 1
	v_mov_b64_e32 v[80:81], v[2:3]
.LBB0_2:                                ; =>This Inner Loop Header: Depth=1
	s_load_dwordx2 s[24:25], s[20:21], 0x0
                                        ; implicit-def: $vgpr84_vgpr85
	s_waitcnt lgkmcnt(0)
	v_or_b32_e32 v5, s25, v7
	v_cmp_ne_u64_e32 vcc, 0, v[4:5]
	s_and_saveexec_b64 s[2:3], vcc
	s_xor_b64 s[26:27], exec, s[2:3]
	s_cbranch_execz .LBB0_4
; %bb.3:                                ;   in Loop: Header=BB0_2 Depth=1
	v_cvt_f32_u32_e32 v5, s24
	v_cvt_f32_u32_e32 v8, s25
	s_sub_u32 s2, 0, s24
	s_subb_u32 s3, 0, s25
	v_fmac_f32_e32 v5, 0x4f800000, v8
	v_rcp_f32_e32 v5, v5
	s_nop 0
	v_mul_f32_e32 v5, 0x5f7ffffc, v5
	v_mul_f32_e32 v8, 0x2f800000, v5
	v_trunc_f32_e32 v8, v8
	v_fmac_f32_e32 v5, 0xcf800000, v8
	v_cvt_u32_f32_e32 v12, v8
	v_cvt_u32_f32_e32 v5, v5
	v_mul_lo_u32 v8, s2, v12
	v_mul_hi_u32 v10, s2, v5
	v_mul_lo_u32 v9, s3, v5
	v_add_u32_e32 v10, v10, v8
	v_mul_lo_u32 v13, s2, v5
	v_add_u32_e32 v14, v10, v9
	v_mul_hi_u32 v8, v5, v13
	v_mul_hi_u32 v11, v5, v14
	v_mul_lo_u32 v10, v5, v14
	v_mov_b32_e32 v9, v4
	v_lshl_add_u64 v[8:9], v[8:9], 0, v[10:11]
	v_mul_hi_u32 v11, v12, v13
	v_mul_lo_u32 v13, v12, v13
	v_add_co_u32_e32 v8, vcc, v8, v13
	v_mul_hi_u32 v10, v12, v14
	s_nop 0
	v_addc_co_u32_e32 v8, vcc, v9, v11, vcc
	v_mov_b32_e32 v9, v4
	s_nop 0
	v_addc_co_u32_e32 v11, vcc, 0, v10, vcc
	v_mul_lo_u32 v10, v12, v14
	v_lshl_add_u64 v[8:9], v[8:9], 0, v[10:11]
	v_add_co_u32_e32 v5, vcc, v5, v8
	v_mul_lo_u32 v10, s2, v5
	s_nop 0
	v_addc_co_u32_e32 v12, vcc, v12, v9, vcc
	v_mul_lo_u32 v8, s2, v12
	v_mul_hi_u32 v9, s2, v5
	v_add_u32_e32 v8, v9, v8
	v_mul_lo_u32 v9, s3, v5
	v_add_u32_e32 v13, v8, v9
	v_mul_hi_u32 v15, v12, v10
	v_mul_lo_u32 v16, v12, v10
	v_mul_hi_u32 v9, v5, v13
	v_mul_lo_u32 v8, v5, v13
	v_mul_hi_u32 v10, v5, v10
	v_mov_b32_e32 v11, v4
	v_lshl_add_u64 v[8:9], v[10:11], 0, v[8:9]
	v_add_co_u32_e32 v8, vcc, v8, v16
	v_mul_hi_u32 v14, v12, v13
	s_nop 0
	v_addc_co_u32_e32 v8, vcc, v9, v15, vcc
	v_mul_lo_u32 v10, v12, v13
	s_nop 0
	v_addc_co_u32_e32 v11, vcc, 0, v14, vcc
	v_mov_b32_e32 v9, v4
	v_lshl_add_u64 v[8:9], v[8:9], 0, v[10:11]
	v_add_co_u32_e32 v5, vcc, v5, v8
	v_mul_hi_u32 v10, v6, v5
	s_nop 0
	v_addc_co_u32_e32 v12, vcc, v12, v9, vcc
	v_mad_u64_u32 v[8:9], s[2:3], v6, v12, 0
	v_mov_b32_e32 v11, v4
	v_lshl_add_u64 v[8:9], v[10:11], 0, v[8:9]
	v_mad_u64_u32 v[10:11], s[2:3], v7, v12, 0
	v_mad_u64_u32 v[12:13], s[2:3], v7, v5, 0
	v_add_co_u32_e32 v5, vcc, v8, v12
	s_nop 1
	v_addc_co_u32_e32 v8, vcc, v9, v13, vcc
	v_mov_b32_e32 v9, v4
	s_nop 0
	v_addc_co_u32_e32 v11, vcc, 0, v11, vcc
	v_lshl_add_u64 v[8:9], v[8:9], 0, v[10:11]
	v_mul_lo_u32 v5, s25, v8
	v_mul_lo_u32 v12, s24, v9
	v_mad_u64_u32 v[10:11], s[2:3], s24, v8, 0
	v_add3_u32 v5, v11, v12, v5
	v_sub_u32_e32 v11, v7, v5
	v_mov_b32_e32 v12, s25
	v_sub_co_u32_e32 v14, vcc, v6, v10
	s_nop 1
	v_subb_co_u32_e64 v10, s[2:3], v11, v12, vcc
	v_subrev_co_u32_e64 v11, s[2:3], s24, v14
	v_subb_co_u32_e32 v5, vcc, v7, v5, vcc
	s_nop 0
	v_subbrev_co_u32_e64 v10, s[2:3], 0, v10, s[2:3]
	v_cmp_le_u32_e64 s[2:3], s25, v10
	v_cmp_le_u32_e32 vcc, s25, v5
	s_nop 0
	v_cndmask_b32_e64 v12, 0, -1, s[2:3]
	v_cmp_le_u32_e64 s[2:3], s24, v11
	s_nop 1
	v_cndmask_b32_e64 v11, 0, -1, s[2:3]
	v_cmp_eq_u32_e64 s[2:3], s25, v10
	s_nop 1
	v_cndmask_b32_e64 v15, v12, v11, s[2:3]
	v_lshl_add_u64 v[10:11], v[8:9], 0, 2
	v_lshl_add_u64 v[12:13], v[8:9], 0, 1
	v_cmp_ne_u32_e64 s[2:3], 0, v15
	s_nop 1
	v_cndmask_b32_e64 v11, v13, v11, s[2:3]
	v_cndmask_b32_e64 v13, 0, -1, vcc
	v_cmp_le_u32_e32 vcc, s24, v14
	s_nop 1
	v_cndmask_b32_e64 v14, 0, -1, vcc
	v_cmp_eq_u32_e32 vcc, s25, v5
	s_nop 1
	v_cndmask_b32_e32 v5, v13, v14, vcc
	v_cmp_ne_u32_e32 vcc, 0, v5
	v_cndmask_b32_e64 v5, v12, v10, s[2:3]
	s_nop 0
	v_cndmask_b32_e32 v85, v9, v11, vcc
	v_cndmask_b32_e32 v84, v8, v5, vcc
.LBB0_4:                                ;   in Loop: Header=BB0_2 Depth=1
	s_andn2_saveexec_b64 s[2:3], s[26:27]
	s_cbranch_execz .LBB0_6
; %bb.5:                                ;   in Loop: Header=BB0_2 Depth=1
	v_cvt_f32_u32_e32 v5, s24
	s_sub_i32 s26, 0, s24
	v_mov_b32_e32 v85, v4
	v_rcp_iflag_f32_e32 v5, v5
	s_nop 0
	v_mul_f32_e32 v5, 0x4f7ffffe, v5
	v_cvt_u32_f32_e32 v5, v5
	v_mul_lo_u32 v8, s26, v5
	v_mul_hi_u32 v8, v5, v8
	v_add_u32_e32 v5, v5, v8
	v_mul_hi_u32 v5, v6, v5
	v_mul_lo_u32 v8, v5, s24
	v_sub_u32_e32 v8, v6, v8
	v_add_u32_e32 v9, 1, v5
	v_subrev_u32_e32 v10, s24, v8
	v_cmp_le_u32_e32 vcc, s24, v8
	s_nop 1
	v_cndmask_b32_e32 v8, v8, v10, vcc
	v_cndmask_b32_e32 v5, v5, v9, vcc
	v_add_u32_e32 v9, 1, v5
	v_cmp_le_u32_e32 vcc, s24, v8
	s_nop 1
	v_cndmask_b32_e32 v84, v5, v9, vcc
.LBB0_6:                                ;   in Loop: Header=BB0_2 Depth=1
	s_or_b64 exec, exec, s[2:3]
	v_mad_u64_u32 v[8:9], s[2:3], v84, s24, 0
	s_load_dwordx2 s[2:3], s[18:19], 0x0
	v_mul_lo_u32 v5, v85, s24
	v_mul_lo_u32 v10, v84, s25
	s_load_dwordx2 s[24:25], s[16:17], 0x0
	s_add_u32 s22, s22, 1
	v_add3_u32 v5, v9, v10, v5
	v_sub_co_u32_e32 v6, vcc, v6, v8
	s_addc_u32 s23, s23, 0
	s_nop 0
	v_subb_co_u32_e32 v5, vcc, v7, v5, vcc
	s_add_u32 s16, s16, 8
	s_waitcnt lgkmcnt(0)
	v_mul_lo_u32 v7, s2, v5
	v_mul_lo_u32 v8, s3, v6
	v_mad_u64_u32 v[2:3], s[2:3], s2, v6, v[2:3]
	s_addc_u32 s17, s17, 0
	v_add3_u32 v3, v8, v3, v7
	v_mul_lo_u32 v5, s24, v5
	v_mul_lo_u32 v7, s25, v6
	v_mad_u64_u32 v[80:81], s[2:3], s24, v6, v[80:81]
	s_add_u32 s18, s18, 8
	v_add3_u32 v81, v7, v81, v5
	s_addc_u32 s19, s19, 0
	v_mov_b64_e32 v[6:7], s[10:11]
	s_add_u32 s20, s20, 8
	v_cmp_ge_u64_e32 vcc, s[22:23], v[6:7]
	s_addc_u32 s21, s21, 0
	s_cbranch_vccnz .LBB0_9
; %bb.7:                                ;   in Loop: Header=BB0_2 Depth=1
	v_mov_b64_e32 v[6:7], v[84:85]
	s_branch .LBB0_2
.LBB0_8:
	v_mov_b64_e32 v[80:81], v[2:3]
	v_mov_b64_e32 v[84:85], v[6:7]
.LBB0_9:
	s_load_dwordx2 s[0:1], s[0:1], 0x28
	s_lshl_b64 s[10:11], s[10:11], 3
	s_add_u32 s2, s14, s10
	s_addc_u32 s3, s15, s11
	v_and_b32_e32 v82, 15, v0
	s_waitcnt lgkmcnt(0)
	v_cmp_gt_u64_e32 vcc, s[0:1], v[84:85]
	v_cmp_le_u64_e64 s[0:1], s[0:1], v[84:85]
                                        ; implicit-def: $vgpr98
                                        ; implicit-def: $vgpr94
                                        ; implicit-def: $vgpr92
                                        ; implicit-def: $vgpr102
                                        ; implicit-def: $vgpr90
                                        ; implicit-def: $vgpr100
                                        ; implicit-def: $vgpr88
                                        ; implicit-def: $vgpr96
                                        ; implicit-def: $vgpr86
	s_and_saveexec_b64 s[14:15], s[0:1]
	s_xor_b64 s[0:1], exec, s[14:15]
	s_cbranch_execz .LBB0_11
; %bb.10:
	v_and_b32_e32 v82, 15, v0
	v_mov_b32_e32 v83, 0
	v_or_b32_e32 v98, 16, v82
	v_or_b32_e32 v94, 0x50, v82
	;; [unrolled: 1-line block ×9, first 2 shown]
	v_mov_b32_e32 v99, v83
	v_mov_b32_e32 v103, v83
	;; [unrolled: 1-line block ×9, first 2 shown]
                                        ; implicit-def: $vgpr2_vgpr3
.LBB0_11:
	s_or_saveexec_b64 s[0:1], s[0:1]
	v_mul_u32_u24_e32 v0, 0x141, v1
	v_lshlrev_b32_e32 v122, 4, v0
	s_xor_b64 exec, exec, s[0:1]
	s_cbranch_execz .LBB0_13
; %bb.12:
	s_add_u32 s10, s12, s10
	s_addc_u32 s11, s13, s11
	s_load_dwordx2 s[10:11], s[10:11], 0x0
	v_mov_b32_e32 v83, 0
	v_lshlrev_b32_e32 v104, 4, v82
	v_mov_b32_e32 v105, v83
	v_or_b32_e32 v32, 0x1000, v104
	s_waitcnt lgkmcnt(0)
	v_mul_lo_u32 v4, s11, v84
	v_mul_lo_u32 v5, s10, v85
	v_mad_u64_u32 v[0:1], s[10:11], s10, v84, 0
	v_add3_u32 v1, v1, v5, v4
	v_lshl_add_u64 v[0:1], v[0:1], 4, s[4:5]
	v_lshl_add_u64 v[40:41], v[2:3], 4, v[0:1]
	;; [unrolled: 1-line block ×3, first 2 shown]
	v_mov_b32_e32 v33, v83
	v_or_b32_e32 v34, 0x1100, v104
	v_mov_b32_e32 v35, v83
	v_or_b32_e32 v42, 0x1200, v104
	v_mov_b32_e32 v43, v83
	v_or_b32_e32 v44, 0x1300, v104
	v_mov_b32_e32 v45, v83
	global_load_dwordx4 v[0:3], v[86:87], off
	global_load_dwordx4 v[4:7], v[86:87], off offset:256
	global_load_dwordx4 v[8:11], v[86:87], off offset:512
	;; [unrolled: 1-line block ×7, first 2 shown]
	v_lshl_add_u64 v[88:89], v[40:41], 0, v[32:33]
	v_lshl_add_u64 v[90:91], v[40:41], 0, v[34:35]
	global_load_dwordx4 v[32:35], v[86:87], off offset:2048
	global_load_dwordx4 v[36:39], v[86:87], off offset:2304
	v_lshl_add_u64 v[92:93], v[40:41], 0, v[42:43]
	v_lshl_add_u64 v[94:95], v[40:41], 0, v[44:45]
	global_load_dwordx4 v[40:43], v[86:87], off offset:2560
	global_load_dwordx4 v[44:47], v[86:87], off offset:2816
	;; [unrolled: 1-line block ×6, first 2 shown]
	global_load_dwordx4 v[64:67], v[88:89], off
	global_load_dwordx4 v[68:71], v[90:91], off
	;; [unrolled: 1-line block ×4, first 2 shown]
	v_or_b32_e32 v98, 16, v82
	v_or_b32_e32 v102, 32, v82
	;; [unrolled: 1-line block ×9, first 2 shown]
	v_add3_u32 v104, 0, v122, v104
	v_mov_b32_e32 v99, v83
	v_mov_b32_e32 v103, v83
	;; [unrolled: 1-line block ×9, first 2 shown]
	s_waitcnt vmcnt(19)
	ds_write_b128 v104, v[0:3]
	s_waitcnt vmcnt(18)
	ds_write_b128 v104, v[4:7] offset:256
	s_waitcnt vmcnt(17)
	ds_write_b128 v104, v[8:11] offset:512
	;; [unrolled: 2-line block ×19, first 2 shown]
.LBB0_13:
	s_or_b64 exec, exec, s[0:1]
	v_add_u32_e32 v118, 0, v122
	v_lshlrev_b32_e32 v120, 4, v82
	v_add_u32_e32 v119, v118, v120
	s_load_dwordx2 s[2:3], s[2:3], 0x0
	s_waitcnt lgkmcnt(0)
	; wave barrier
	s_waitcnt lgkmcnt(0)
	ds_read_b128 v[8:11], v119
	v_add3_u32 v121, 0, v120, v122
	ds_read_b128 v[16:19], v121 offset:512
	ds_read_b128 v[36:39], v121 offset:1024
	;; [unrolled: 1-line block ×17, first 2 shown]
	s_waitcnt lgkmcnt(11)
	v_add_f64 v[50:51], v[40:41], v[44:45]
	s_mov_b32 s10, 0x134454ff
	v_fma_f64 v[72:73], -0.5, v[50:51], v[8:9]
	s_waitcnt lgkmcnt(9)
	v_add_f64 v[78:79], v[38:39], -v[76:77]
	s_mov_b32 s11, 0x3fee6f0e
	s_mov_b32 s4, 0x4755a5e
	;; [unrolled: 1-line block ×4, first 2 shown]
	v_fma_f64 v[50:51], s[10:11], v[78:79], v[72:73]
	v_add_f64 v[104:105], v[42:43], -v[46:47]
	s_mov_b32 s5, 0x3fe2cf23
	v_add_f64 v[106:107], v[36:37], -v[40:41]
	v_add_f64 v[108:109], v[74:75], -v[44:45]
	s_mov_b32 s12, 0x372fe950
	v_fmac_f64_e32 v[72:73], s[14:15], v[78:79]
	s_mov_b32 s1, 0xbfe2cf23
	s_mov_b32 s0, s4
	v_fmac_f64_e32 v[50:51], s[4:5], v[104:105]
	v_add_f64 v[106:107], v[106:107], v[108:109]
	s_mov_b32 s13, 0x3fd3c6ef
	v_fmac_f64_e32 v[72:73], s[0:1], v[104:105]
	v_fmac_f64_e32 v[50:51], s[12:13], v[106:107]
	v_fmac_f64_e32 v[72:73], s[12:13], v[106:107]
	v_add_f64 v[106:107], v[36:37], v[74:75]
	v_add_f64 v[48:49], v[8:9], v[36:37]
	v_fmac_f64_e32 v[8:9], -0.5, v[106:107]
	v_add_f64 v[48:49], v[48:49], v[40:41]
	v_fma_f64 v[106:107], s[14:15], v[104:105], v[8:9]
	v_add_f64 v[108:109], v[40:41], -v[36:37]
	v_add_f64 v[110:111], v[44:45], -v[74:75]
	v_fmac_f64_e32 v[8:9], s[10:11], v[104:105]
	v_add_f64 v[104:105], v[42:43], v[46:47]
	v_add_f64 v[48:49], v[48:49], v[44:45]
	v_fmac_f64_e32 v[106:107], s[4:5], v[78:79]
	v_add_f64 v[108:109], v[108:109], v[110:111]
	v_fmac_f64_e32 v[8:9], s[0:1], v[78:79]
	v_fma_f64 v[104:105], -0.5, v[104:105], v[10:11]
	v_add_f64 v[36:37], v[36:37], -v[74:75]
	v_add_f64 v[48:49], v[48:49], v[74:75]
	v_fmac_f64_e32 v[106:107], s[12:13], v[108:109]
	v_fmac_f64_e32 v[8:9], s[12:13], v[108:109]
	v_fma_f64 v[74:75], s[14:15], v[36:37], v[104:105]
	v_add_f64 v[108:109], v[38:39], -v[42:43]
	v_add_f64 v[110:111], v[76:77], -v[46:47]
	;; [unrolled: 1-line block ×3, first 2 shown]
	v_fmac_f64_e32 v[104:105], s[10:11], v[36:37]
	v_add_f64 v[44:45], v[38:39], v[76:77]
	v_add_f64 v[78:79], v[10:11], v[38:39]
	;; [unrolled: 1-line block ×3, first 2 shown]
	v_fmac_f64_e32 v[74:75], s[0:1], v[40:41]
	v_fmac_f64_e32 v[104:105], s[4:5], v[40:41]
	v_fmac_f64_e32 v[10:11], -0.5, v[44:45]
	v_fmac_f64_e32 v[74:75], s[12:13], v[108:109]
	v_fmac_f64_e32 v[104:105], s[12:13], v[108:109]
	v_fma_f64 v[108:109], s[10:11], v[40:41], v[10:11]
	v_fmac_f64_e32 v[10:11], s[14:15], v[40:41]
	v_fmac_f64_e32 v[108:109], s[0:1], v[36:37]
	;; [unrolled: 1-line block ×3, first 2 shown]
	v_add_f64 v[36:37], v[16:17], v[20:21]
	v_add_f64 v[78:79], v[78:79], v[42:43]
	v_add_f64 v[36:37], v[36:37], v[24:25]
	v_add_f64 v[78:79], v[78:79], v[46:47]
	v_add_f64 v[38:39], v[42:43], -v[38:39]
	v_add_f64 v[42:43], v[46:47], -v[76:77]
	v_add_f64 v[36:37], v[36:37], v[28:29]
	v_add_f64 v[78:79], v[78:79], v[76:77]
	v_add_f64 v[38:39], v[38:39], v[42:43]
	s_waitcnt lgkmcnt(8)
	v_add_f64 v[76:77], v[36:37], v[32:33]
	v_add_f64 v[36:37], v[24:25], v[28:29]
	v_fmac_f64_e32 v[108:109], s[12:13], v[38:39]
	v_fmac_f64_e32 v[10:11], s[12:13], v[38:39]
	v_fma_f64 v[38:39], -0.5, v[36:37], v[16:17]
	v_add_f64 v[36:37], v[22:23], -v[34:35]
	v_fma_f64 v[42:43], s[10:11], v[36:37], v[38:39]
	v_add_f64 v[40:41], v[26:27], -v[30:31]
	v_add_f64 v[44:45], v[20:21], -v[24:25]
	;; [unrolled: 1-line block ×3, first 2 shown]
	v_fmac_f64_e32 v[38:39], s[14:15], v[36:37]
	v_fmac_f64_e32 v[42:43], s[4:5], v[40:41]
	v_add_f64 v[44:45], v[44:45], v[46:47]
	v_fmac_f64_e32 v[38:39], s[0:1], v[40:41]
	v_fmac_f64_e32 v[42:43], s[12:13], v[44:45]
	;; [unrolled: 1-line block ×3, first 2 shown]
	v_add_f64 v[44:45], v[20:21], v[32:33]
	v_fmac_f64_e32 v[16:17], -0.5, v[44:45]
	v_fma_f64 v[44:45], s[14:15], v[40:41], v[16:17]
	v_fmac_f64_e32 v[16:17], s[10:11], v[40:41]
	v_fmac_f64_e32 v[44:45], s[4:5], v[36:37]
	;; [unrolled: 1-line block ×3, first 2 shown]
	v_add_f64 v[36:37], v[18:19], v[22:23]
	v_add_f64 v[36:37], v[36:37], v[26:27]
	v_add_f64 v[46:47], v[24:25], -v[20:21]
	v_add_f64 v[110:111], v[28:29], -v[32:33]
	v_add_f64 v[36:37], v[36:37], v[30:31]
	v_add_f64 v[46:47], v[46:47], v[110:111]
	;; [unrolled: 1-line block ×4, first 2 shown]
	v_add_f64 v[24:25], v[24:25], -v[28:29]
	v_add_f64 v[28:29], v[22:23], v[34:35]
	v_fmac_f64_e32 v[44:45], s[12:13], v[46:47]
	v_fmac_f64_e32 v[16:17], s[12:13], v[46:47]
	v_fma_f64 v[46:47], -0.5, v[36:37], v[18:19]
	v_fmac_f64_e32 v[18:19], -0.5, v[28:29]
	v_add_f64 v[20:21], v[20:21], -v[32:33]
	v_add_f64 v[36:37], v[22:23], -v[26:27]
	v_fma_f64 v[112:113], s[10:11], v[24:25], v[18:19]
	v_add_f64 v[22:23], v[26:27], -v[22:23]
	v_add_f64 v[26:27], v[30:31], -v[34:35]
	v_fmac_f64_e32 v[18:19], s[14:15], v[24:25]
	v_fma_f64 v[32:33], s[14:15], v[20:21], v[46:47]
	v_fmac_f64_e32 v[46:47], s[10:11], v[20:21]
	v_add_f64 v[22:23], v[22:23], v[26:27]
	v_fmac_f64_e32 v[18:19], s[4:5], v[20:21]
	v_add_f64 v[40:41], v[34:35], -v[30:31]
	v_fmac_f64_e32 v[32:33], s[0:1], v[24:25]
	v_fmac_f64_e32 v[46:47], s[4:5], v[24:25]
	;; [unrolled: 1-line block ×3, first 2 shown]
	s_mov_b32 s16, 0x9b97f4a8
	v_mul_f64 v[24:25], v[16:17], s[12:13]
	v_add_f64 v[36:37], v[36:37], v[40:41]
	v_fmac_f64_e32 v[112:113], s[0:1], v[20:21]
	s_mov_b32 s17, 0x3fe9e377
	v_fma_f64 v[34:35], v[18:19], s[10:11], -v[24:25]
	v_mul_f64 v[18:19], v[18:19], s[12:13]
	v_fmac_f64_e32 v[46:47], s[12:13], v[36:37]
	v_fmac_f64_e32 v[112:113], s[12:13], v[22:23]
	v_fma_f64 v[18:19], v[16:17], s[14:15], -v[18:19]
	v_mul_f64 v[16:17], v[38:39], s[16:17]
	v_mul_f64 v[22:23], v[112:113], s[10:11]
	v_fma_f64 v[116:117], v[46:47], s[4:5], -v[16:17]
	v_mul_f64 v[124:125], v[44:45], s[14:15]
	v_mul_f64 v[16:17], v[46:47], s[16:17]
	v_fmac_f64_e32 v[32:33], s[12:13], v[36:37]
	v_fmac_f64_e32 v[22:23], s[12:13], v[44:45]
	v_add_f64 v[24:25], v[8:9], v[34:35]
	v_mul_f64 v[114:115], v[42:43], s[0:1]
	v_fmac_f64_e32 v[124:125], s[12:13], v[112:113]
	v_fma_f64 v[112:113], v[38:39], s[0:1], -v[16:17]
	v_add_f64 v[44:45], v[72:73], v[116:117]
	v_add_f64 v[16:17], v[8:9], -v[34:35]
	v_add_f64 v[8:9], v[72:73], -v[116:117]
	s_waitcnt lgkmcnt(5)
	v_add_f64 v[72:73], v[0:1], v[64:65]
	v_add_f64 v[40:41], v[48:49], v[76:77]
	v_mul_f64 v[20:21], v[42:43], s[16:17]
	v_fmac_f64_e32 v[114:115], s[16:17], v[32:33]
	v_add_f64 v[48:49], v[48:49], -v[76:77]
	s_waitcnt lgkmcnt(3)
	v_add_f64 v[76:77], v[72:73], v[68:69]
	s_waitcnt lgkmcnt(1)
	v_add_f64 v[72:73], v[68:69], v[56:57]
	v_fmac_f64_e32 v[20:21], s[4:5], v[32:33]
	v_add_f64 v[38:39], v[74:75], v[114:115]
	v_add_f64 v[26:27], v[10:11], v[18:19]
	;; [unrolled: 1-line block ×3, first 2 shown]
	v_add_f64 v[34:35], v[74:75], -v[114:115]
	v_add_f64 v[18:19], v[10:11], -v[18:19]
	;; [unrolled: 1-line block ×3, first 2 shown]
	v_fma_f64 v[104:105], -0.5, v[72:73], v[0:1]
	s_waitcnt lgkmcnt(0)
	v_add_f64 v[74:75], v[66:67], -v[62:63]
	v_add_f64 v[36:37], v[50:51], v[20:21]
	v_add_f64 v[28:29], v[106:107], v[22:23]
	;; [unrolled: 1-line block ×4, first 2 shown]
	v_add_f64 v[32:33], v[50:51], -v[20:21]
	v_add_f64 v[20:21], v[106:107], -v[22:23]
	;; [unrolled: 1-line block ×4, first 2 shown]
	v_fma_f64 v[72:73], s[10:11], v[74:75], v[104:105]
	v_add_f64 v[78:79], v[70:71], -v[58:59]
	v_add_f64 v[106:107], v[64:65], -v[68:69]
	;; [unrolled: 1-line block ×3, first 2 shown]
	v_fmac_f64_e32 v[104:105], s[14:15], v[74:75]
	v_fmac_f64_e32 v[72:73], s[4:5], v[78:79]
	v_add_f64 v[106:107], v[106:107], v[108:109]
	v_fmac_f64_e32 v[104:105], s[0:1], v[78:79]
	v_fmac_f64_e32 v[72:73], s[12:13], v[106:107]
	;; [unrolled: 1-line block ×3, first 2 shown]
	v_add_f64 v[106:107], v[64:65], v[60:61]
	v_fmac_f64_e32 v[0:1], -0.5, v[106:107]
	v_fma_f64 v[108:109], s[14:15], v[78:79], v[0:1]
	v_fmac_f64_e32 v[0:1], s[10:11], v[78:79]
	v_fmac_f64_e32 v[108:109], s[4:5], v[74:75]
	v_add_f64 v[106:107], v[68:69], -v[64:65]
	v_add_f64 v[110:111], v[56:57], -v[60:61]
	v_fmac_f64_e32 v[0:1], s[0:1], v[74:75]
	v_add_f64 v[74:75], v[2:3], v[66:67]
	v_add_f64 v[106:107], v[106:107], v[110:111]
	;; [unrolled: 1-line block ×4, first 2 shown]
	v_fmac_f64_e32 v[108:109], s[12:13], v[106:107]
	v_fmac_f64_e32 v[0:1], s[12:13], v[106:107]
	v_fma_f64 v[106:107], -0.5, v[74:75], v[2:3]
	v_add_f64 v[78:79], v[64:65], -v[60:61]
	v_add_f64 v[64:65], v[66:67], -v[70:71]
	;; [unrolled: 1-line block ×3, first 2 shown]
	v_fma_f64 v[74:75], s[14:15], v[78:79], v[106:107]
	v_add_f64 v[64:65], v[64:65], v[112:113]
	v_add_f64 v[112:113], v[68:69], -v[56:57]
	v_fmac_f64_e32 v[106:107], s[10:11], v[78:79]
	v_fmac_f64_e32 v[74:75], s[0:1], v[112:113]
	;; [unrolled: 1-line block ×5, first 2 shown]
	v_add_f64 v[114:115], v[70:71], -v[66:67]
	ds_read_b128 v[68:71], v121 offset:3840
	v_add_f64 v[64:65], v[66:67], v[62:63]
	v_fmac_f64_e32 v[2:3], -0.5, v[64:65]
	ds_read_b128 v[64:67], v121 offset:4864
	v_add_f64 v[56:57], v[76:77], v[56:57]
	v_add_f64 v[116:117], v[56:57], v[60:61]
	;; [unrolled: 1-line block ×4, first 2 shown]
	v_add_f64 v[56:57], v[58:59], -v[62:63]
	s_waitcnt lgkmcnt(1)
	v_add_f64 v[58:59], v[52:53], v[68:69]
	v_fma_f64 v[60:61], s[10:11], v[112:113], v[2:3]
	v_fmac_f64_e32 v[2:3], s[14:15], v[112:113]
	v_fma_f64 v[58:59], -0.5, v[58:59], v[4:5]
	s_waitcnt lgkmcnt(0)
	v_add_f64 v[62:63], v[14:15], -v[66:67]
	v_add_f64 v[110:111], v[12:13], -v[52:53]
	;; [unrolled: 1-line block ×3, first 2 shown]
	v_fmac_f64_e32 v[60:61], s[0:1], v[78:79]
	v_fmac_f64_e32 v[2:3], s[4:5], v[78:79]
	v_fma_f64 v[78:79], s[10:11], v[62:63], v[58:59]
	v_add_f64 v[110:111], v[110:111], v[112:113]
	v_add_f64 v[112:113], v[54:55], -v[70:71]
	v_fmac_f64_e32 v[58:59], s[14:15], v[62:63]
	v_fmac_f64_e32 v[78:79], s[4:5], v[112:113]
	;; [unrolled: 1-line block ×3, first 2 shown]
	v_add_f64 v[56:57], v[114:115], v[56:57]
	v_fmac_f64_e32 v[78:79], s[12:13], v[110:111]
	v_fmac_f64_e32 v[58:59], s[12:13], v[110:111]
	v_add_f64 v[110:111], v[12:13], v[64:65]
	v_fmac_f64_e32 v[60:61], s[12:13], v[56:57]
	v_fmac_f64_e32 v[2:3], s[12:13], v[56:57]
	v_add_f64 v[56:57], v[4:5], v[12:13]
	v_fmac_f64_e32 v[4:5], -0.5, v[110:111]
	v_add_f64 v[110:111], v[52:53], -v[12:13]
	v_add_f64 v[114:115], v[68:69], -v[64:65]
	v_add_f64 v[110:111], v[110:111], v[114:115]
	v_fma_f64 v[114:115], s[14:15], v[112:113], v[4:5]
	v_fmac_f64_e32 v[4:5], s[10:11], v[112:113]
	v_fmac_f64_e32 v[114:115], s[4:5], v[62:63]
	;; [unrolled: 1-line block ×5, first 2 shown]
	v_add_f64 v[62:63], v[14:15], -v[54:55]
	v_add_f64 v[110:111], v[66:67], -v[70:71]
	v_add_f64 v[62:63], v[62:63], v[110:111]
	v_add_f64 v[110:111], v[54:55], v[70:71]
	v_add_f64 v[124:125], v[52:53], -v[68:69]
	v_add_f64 v[52:53], v[56:57], v[52:53]
	v_add_f64 v[56:57], v[6:7], v[14:15]
	v_fma_f64 v[110:111], -0.5, v[110:111], v[6:7]
	v_add_f64 v[12:13], v[12:13], -v[64:65]
	v_add_f64 v[56:57], v[56:57], v[54:55]
	v_add_f64 v[54:55], v[54:55], -v[14:15]
	v_add_f64 v[14:15], v[14:15], v[66:67]
	v_fma_f64 v[112:113], s[14:15], v[12:13], v[110:111]
	v_fmac_f64_e32 v[110:111], s[10:11], v[12:13]
	v_fmac_f64_e32 v[6:7], -0.5, v[14:15]
	v_add_f64 v[14:15], v[52:53], v[68:69]
	v_fmac_f64_e32 v[112:113], s[0:1], v[124:125]
	v_fmac_f64_e32 v[110:111], s[4:5], v[124:125]
	v_add_f64 v[52:53], v[14:15], v[64:65]
	v_add_f64 v[14:15], v[56:57], v[70:71]
	v_fmac_f64_e32 v[112:113], s[12:13], v[62:63]
	v_fmac_f64_e32 v[110:111], s[12:13], v[62:63]
	v_add_f64 v[62:63], v[14:15], v[66:67]
	v_add_f64 v[14:15], v[70:71], -v[66:67]
	v_fma_f64 v[56:57], s[10:11], v[124:125], v[6:7]
	v_fmac_f64_e32 v[6:7], s[14:15], v[124:125]
	v_fmac_f64_e32 v[56:57], s[0:1], v[12:13]
	v_add_f64 v[14:15], v[54:55], v[14:15]
	v_fmac_f64_e32 v[6:7], s[4:5], v[12:13]
	v_fmac_f64_e32 v[56:57], s[12:13], v[14:15]
	;; [unrolled: 1-line block ×3, first 2 shown]
	v_mul_f64 v[14:15], v[4:5], s[12:13]
	v_fma_f64 v[124:125], v[6:7], s[10:11], -v[14:15]
	v_mul_f64 v[6:7], v[6:7], s[12:13]
	v_mul_f64 v[64:65], v[78:79], s[16:17]
	v_fma_f64 v[126:127], v[4:5], s[14:15], -v[6:7]
	v_mul_f64 v[66:67], v[78:79], s[0:1]
	v_mul_f64 v[6:7], v[58:59], s[16:17]
	;; [unrolled: 1-line block ×3, first 2 shown]
	v_fmac_f64_e32 v[64:65], s[4:5], v[112:113]
	v_fmac_f64_e32 v[66:67], s[16:17], v[112:113]
	v_fma_f64 v[112:113], v[110:111], s[4:5], -v[6:7]
	v_fmac_f64_e32 v[70:71], s[12:13], v[56:57]
	v_mul_f64 v[6:7], v[110:111], s[16:17]
	v_add_f64 v[4:5], v[72:73], v[64:65]
	v_fma_f64 v[110:111], v[58:59], s[0:1], -v[6:7]
	v_add_f64 v[14:15], v[76:77], v[62:63]
	v_add_f64 v[54:55], v[76:77], -v[62:63]
	v_add_f64 v[76:77], v[0:1], v[124:125]
	v_add_f64 v[64:65], v[72:73], -v[64:65]
	v_add_f64 v[72:73], v[104:105], v[112:113]
	v_add_f64 v[58:59], v[60:61], v[70:71]
	v_add_f64 v[70:71], v[60:61], -v[70:71]
	v_add_f64 v[60:61], v[0:1], -v[124:125]
	;; [unrolled: 1-line block ×3, first 2 shown]
	v_mul_u32_u24_e32 v104, 10, v82
	v_lshl_add_u32 v104, v104, 4, v118
	v_mul_f64 v[68:69], v[56:57], s[10:11]
	s_waitcnt lgkmcnt(0)
	; wave barrier
	ds_write_b128 v104, v[40:43]
	ds_write_b128 v104, v[36:39] offset:16
	ds_write_b128 v104, v[28:31] offset:32
	;; [unrolled: 1-line block ×9, first 2 shown]
	v_mul_i32_i24_e32 v8, 10, v98
	v_add_f64 v[12:13], v[116:117], v[52:53]
	v_fmac_f64_e32 v[68:69], s[12:13], v[114:115]
	v_lshl_add_u32 v104, v8, 4, v118
	v_add_f64 v[56:57], v[108:109], v[68:69]
	v_add_f64 v[52:53], v[116:117], -v[52:53]
	v_add_f64 v[6:7], v[74:75], v[66:67]
	v_add_f64 v[66:67], v[74:75], -v[66:67]
	v_add_f64 v[78:79], v[2:3], v[126:127]
	v_add_f64 v[74:75], v[106:107], v[110:111]
	v_add_f64 v[68:69], v[108:109], -v[68:69]
	v_add_f64 v[62:63], v[2:3], -v[126:127]
	;; [unrolled: 1-line block ×3, first 2 shown]
	ds_write_b128 v104, v[12:15]
	ds_write_b128 v104, v[4:7] offset:16
	ds_write_b128 v104, v[56:59] offset:32
	ds_write_b128 v104, v[76:79] offset:48
	ds_write_b128 v104, v[72:75] offset:64
	ds_write_b128 v104, v[52:55] offset:80
	ds_write_b128 v104, v[64:67] offset:96
	ds_write_b128 v104, v[68:71] offset:112
	ds_write_b128 v104, v[60:63] offset:128
	ds_write_b128 v104, v[0:3] offset:144
	v_add_u32_e32 v0, -10, v82
	v_cmp_gt_u32_e64 s[0:1], 10, v82
	v_mov_b32_e32 v25, 0
	s_waitcnt lgkmcnt(0)
	v_cndmask_b32_e64 v79, v0, v82, s[0:1]
	v_mul_i32_i24_e32 v24, 3, v79
	v_lshl_add_u64 v[12:13], v[24:25], 4, s[8:9]
	s_movk_i32 s0, 0xcd
	; wave barrier
	global_load_dwordx4 v[8:11], v[12:13], off
	global_load_dwordx4 v[4:7], v[12:13], off offset:16
	global_load_dwordx4 v[0:3], v[12:13], off offset:32
	v_mul_lo_u16_sdwa v12, v98, s0 dst_sel:DWORD dst_unused:UNUSED_PAD src0_sel:BYTE_0 src1_sel:DWORD
	v_lshrrev_b16_e32 v24, 11, v12
	v_mul_lo_u16_e32 v12, 10, v24
	v_sub_u16_e32 v107, v98, v12
	v_mov_b32_e32 v26, 3
	v_mul_u32_u24_sdwa v12, v107, v26 dst_sel:DWORD dst_unused:UNUSED_PAD src0_sel:BYTE_0 src1_sel:DWORD
	v_lshlrev_b32_e32 v27, 4, v12
	global_load_dwordx4 v[12:15], v27, s[8:9]
	global_load_dwordx4 v[16:19], v27, s[8:9] offset:16
	global_load_dwordx4 v[20:23], v27, s[8:9] offset:32
	v_mul_lo_u16_sdwa v27, v102, s0 dst_sel:DWORD dst_unused:UNUSED_PAD src0_sel:BYTE_0 src1_sel:DWORD
	v_lshrrev_b16_e32 v108, 11, v27
	v_mul_lo_u16_e32 v27, 10, v108
	v_sub_u16_e32 v109, v102, v27
	v_mul_u32_u24_sdwa v27, v109, v26 dst_sel:DWORD dst_unused:UNUSED_PAD src0_sel:BYTE_0 src1_sel:DWORD
	v_lshlrev_b32_e32 v27, 4, v27
	global_load_dwordx4 v[34:37], v27, s[8:9]
	global_load_dwordx4 v[46:49], v27, s[8:9] offset:16
	global_load_dwordx4 v[58:61], v27, s[8:9] offset:32
	v_mul_lo_u16_sdwa v27, v100, s0 dst_sel:DWORD dst_unused:UNUSED_PAD src0_sel:BYTE_0 src1_sel:DWORD
	v_lshrrev_b16_e32 v112, 11, v27
	v_mul_lo_u16_e32 v27, 10, v112
	v_sub_u16_e32 v113, v100, v27
	;; [unrolled: 9-line block ×3, first 2 shown]
	v_mul_u32_u24_sdwa v26, v111, v26 dst_sel:DWORD dst_unused:UNUSED_PAD src0_sel:BYTE_0 src1_sel:DWORD
	v_lshlrev_b32_e32 v26, 4, v26
	global_load_dwordx4 v[114:117], v26, s[8:9]
	global_load_dwordx4 v[124:127], v26, s[8:9] offset:16
	global_load_dwordx4 v[128:131], v26, s[8:9] offset:32
	v_lshl_add_u32 v78, v94, 4, v118
	ds_read_b128 v[26:29], v78
	ds_read_b128 v[30:33], v121 offset:2560
	ds_read_b128 v[38:41], v121 offset:3840
	v_lshl_add_u32 v77, v92, 4, v118
	v_lshl_add_u32 v76, v90, 4, v118
	;; [unrolled: 1-line block ×4, first 2 shown]
	s_movk_i32 s0, 0xff70
	v_mad_i32_i24 v106, v98, s0, v104
	v_cmp_lt_u32_e64 s[0:1], 9, v82
	v_lshlrev_b32_e32 v79, 4, v79
	v_lshl_add_u32 v105, v102, 4, v118
	v_lshl_add_u32 v104, v100, 4, v118
	s_add_u32 s4, s8, 0x1360
	s_addc_u32 s5, s9, 0
	s_waitcnt vmcnt(14) lgkmcnt(2)
	v_mul_f64 v[42:43], v[28:29], v[10:11]
	v_mul_f64 v[134:135], v[26:27], v[10:11]
	v_fma_f64 v[132:133], v[26:27], v[8:9], -v[42:43]
	v_fmac_f64_e32 v[134:135], v[28:29], v[8:9]
	ds_read_b128 v[8:11], v77
	s_waitcnt vmcnt(13) lgkmcnt(2)
	v_mul_f64 v[26:27], v[32:33], v[6:7]
	v_mul_f64 v[138:139], v[30:31], v[6:7]
	v_fma_f64 v[136:137], v[30:31], v[4:5], -v[26:27]
	v_fmac_f64_e32 v[138:139], v[32:33], v[4:5]
	ds_read_b128 v[4:7], v121 offset:2816
	s_waitcnt vmcnt(12) lgkmcnt(2)
	v_mul_f64 v[26:27], v[40:41], v[2:3]
	v_mul_f64 v[142:143], v[38:39], v[2:3]
	v_fma_f64 v[140:141], v[38:39], v[0:1], -v[26:27]
	v_fmac_f64_e32 v[142:143], v[40:41], v[0:1]
	ds_read_b128 v[0:3], v121 offset:4096
	s_waitcnt vmcnt(11) lgkmcnt(2)
	v_mul_f64 v[26:27], v[10:11], v[14:15]
	v_mul_f64 v[28:29], v[8:9], v[14:15]
	v_fma_f64 v[26:27], v[8:9], v[12:13], -v[26:27]
	v_fmac_f64_e32 v[28:29], v[10:11], v[12:13]
	ds_read_b128 v[8:11], v76
	s_waitcnt vmcnt(10) lgkmcnt(2)
	v_mul_f64 v[12:13], v[6:7], v[18:19]
	v_mul_f64 v[40:41], v[4:5], v[18:19]
	v_fma_f64 v[38:39], v[4:5], v[16:17], -v[12:13]
	v_fmac_f64_e32 v[40:41], v[6:7], v[16:17]
	ds_read_b128 v[4:7], v121 offset:3072
	s_waitcnt vmcnt(9) lgkmcnt(2)
	v_mul_f64 v[12:13], v[2:3], v[22:23]
	v_mul_f64 v[52:53], v[0:1], v[22:23]
	v_fma_f64 v[50:51], v[0:1], v[20:21], -v[12:13]
	v_fmac_f64_e32 v[52:53], v[2:3], v[20:21]
	ds_read_b128 v[0:3], v121 offset:4352
	;; [unrolled: 18-line block ×3, first 2 shown]
	s_waitcnt vmcnt(5) lgkmcnt(2)
	v_mul_f64 v[12:13], v[10:11], v[64:65]
	v_fma_f64 v[20:21], v[8:9], v[62:63], -v[12:13]
	v_mul_f64 v[22:23], v[8:9], v[64:65]
	s_waitcnt vmcnt(4) lgkmcnt(1)
	v_mul_f64 v[8:9], v[6:7], v[68:69]
	v_mul_f64 v[36:37], v[4:5], v[68:69]
	v_fma_f64 v[34:35], v[4:5], v[66:67], -v[8:9]
	v_fmac_f64_e32 v[36:37], v[6:7], v[66:67]
	ds_read_b128 v[4:7], v74
	s_waitcnt vmcnt(3) lgkmcnt(1)
	v_mul_f64 v[8:9], v[2:3], v[72:73]
	v_mul_f64 v[48:49], v[0:1], v[72:73]
	v_fma_f64 v[46:47], v[0:1], v[70:71], -v[8:9]
	v_fmac_f64_e32 v[48:49], v[2:3], v[70:71]
	ds_read_b128 v[0:3], v121 offset:3584
	s_waitcnt vmcnt(2) lgkmcnt(1)
	v_mul_f64 v[8:9], v[6:7], v[116:117]
	v_fma_f64 v[16:17], v[4:5], v[114:115], -v[8:9]
	v_mul_f64 v[18:19], v[4:5], v[116:117]
	v_fmac_f64_e32 v[18:19], v[6:7], v[114:115]
	s_waitcnt vmcnt(1) lgkmcnt(0)
	v_mul_f64 v[8:9], v[2:3], v[126:127]
	v_mul_f64 v[60:61], v[0:1], v[126:127]
	ds_read_b128 v[4:7], v121 offset:4864
	v_fma_f64 v[58:59], v[0:1], v[124:125], -v[8:9]
	v_fmac_f64_e32 v[60:61], v[2:3], v[124:125]
	ds_read_b128 v[0:3], v119
	v_add_f64 v[70:71], v[132:133], -v[140:141]
	s_waitcnt vmcnt(0) lgkmcnt(1)
	v_mul_f64 v[8:9], v[6:7], v[130:131]
	v_mul_f64 v[64:65], v[4:5], v[130:131]
	v_add_f64 v[72:73], v[134:135], -v[142:143]
	s_waitcnt lgkmcnt(0)
	v_add_f64 v[66:67], v[0:1], -v[136:137]
	v_add_f64 v[68:69], v[2:3], -v[138:139]
	v_mov_b32_e32 v114, 0x280
	v_fmac_f64_e32 v[22:23], v[10:11], v[62:63]
	v_fma_f64 v[62:63], v[4:5], v[128:129], -v[8:9]
	v_fmac_f64_e32 v[64:65], v[6:7], v[128:129]
	ds_read_b128 v[4:7], v106
	ds_read_b128 v[8:11], v105
	v_fma_f64 v[12:13], v[0:1], 2.0, -v[66:67]
	v_fma_f64 v[14:15], v[2:3], 2.0, -v[68:69]
	;; [unrolled: 1-line block ×4, first 2 shown]
	v_cndmask_b32_e64 v114, 0, v114, s[0:1]
	v_add_f64 v[0:1], v[12:13], -v[0:1]
	v_add_f64 v[2:3], v[14:15], -v[2:3]
	v_add_u32_e32 v114, 0, v114
	v_fma_f64 v[12:13], v[12:13], 2.0, -v[0:1]
	v_fma_f64 v[14:15], v[14:15], 2.0, -v[2:3]
	v_add3_u32 v123, v114, v79, v122
	v_lshl_add_u32 v79, v96, 4, v118
	ds_read_b128 v[114:117], v104
	ds_read_b128 v[124:127], v79
	s_waitcnt lgkmcnt(0)
	; wave barrier
	s_waitcnt lgkmcnt(0)
	ds_write_b128 v123, v[12:15]
	v_add_f64 v[12:13], v[66:67], -v[72:73]
	v_add_f64 v[14:15], v[68:69], v[70:71]
	v_fma_f64 v[66:67], v[66:67], 2.0, -v[12:13]
	v_fma_f64 v[68:69], v[68:69], 2.0, -v[14:15]
	ds_write_b128 v123, v[66:69] offset:160
	v_add_f64 v[66:67], v[4:5], -v[38:39]
	v_add_f64 v[68:69], v[6:7], -v[40:41]
	;; [unrolled: 1-line block ×4, first 2 shown]
	v_fma_f64 v[38:39], v[4:5], 2.0, -v[66:67]
	v_fma_f64 v[40:41], v[6:7], 2.0, -v[68:69]
	;; [unrolled: 1-line block ×4, first 2 shown]
	v_add_f64 v[4:5], v[38:39], -v[4:5]
	v_add_f64 v[6:7], v[40:41], -v[6:7]
	v_fma_f64 v[26:27], v[38:39], 2.0, -v[4:5]
	v_fma_f64 v[28:29], v[40:41], 2.0, -v[6:7]
	v_add_f64 v[38:39], v[66:67], -v[52:53]
	v_add_f64 v[40:41], v[68:69], v[50:51]
	v_fma_f64 v[50:51], v[66:67], 2.0, -v[38:39]
	v_fma_f64 v[52:53], v[68:69], 2.0, -v[40:41]
	v_add_f64 v[66:67], v[8:9], -v[42:43]
	v_add_f64 v[68:69], v[10:11], -v[44:45]
	;; [unrolled: 1-line block ×4, first 2 shown]
	v_fma_f64 v[42:43], v[8:9], 2.0, -v[66:67]
	v_fma_f64 v[44:45], v[10:11], 2.0, -v[68:69]
	;; [unrolled: 1-line block ×4, first 2 shown]
	s_movk_i32 s0, 0x280
	ds_write_b128 v123, v[0:3] offset:320
	ds_write_b128 v123, v[12:15] offset:480
	v_mov_b32_e32 v1, 4
	v_add_f64 v[8:9], v[42:43], -v[8:9]
	v_add_f64 v[10:11], v[44:45], -v[10:11]
	v_mad_u32_u24 v0, v24, s0, 0
	v_lshlrev_b32_sdwa v2, v1, v107 dst_sel:DWORD dst_unused:UNUSED_PAD src0_sel:DWORD src1_sel:BYTE_0
	v_fma_f64 v[30:31], v[42:43], 2.0, -v[8:9]
	v_fma_f64 v[32:33], v[44:45], 2.0, -v[10:11]
	v_add_f64 v[42:43], v[66:67], -v[56:57]
	v_add_f64 v[44:45], v[68:69], v[54:55]
	v_add3_u32 v0, v0, v2, v122
	v_fma_f64 v[54:55], v[66:67], 2.0, -v[42:43]
	v_fma_f64 v[56:57], v[68:69], 2.0, -v[44:45]
	v_add_f64 v[66:67], v[114:115], -v[34:35]
	v_add_f64 v[68:69], v[116:117], -v[36:37]
	;; [unrolled: 1-line block ×4, first 2 shown]
	ds_write_b128 v0, v[26:29]
	ds_write_b128 v0, v[50:53] offset:160
	ds_write_b128 v0, v[4:7] offset:320
	;; [unrolled: 1-line block ×3, first 2 shown]
	v_mad_u32_u24 v0, v108, s0, 0
	v_lshlrev_b32_sdwa v2, v1, v109 dst_sel:DWORD dst_unused:UNUSED_PAD src0_sel:DWORD src1_sel:BYTE_0
	v_fma_f64 v[34:35], v[114:115], 2.0, -v[66:67]
	v_fma_f64 v[36:37], v[116:117], 2.0, -v[68:69]
	;; [unrolled: 1-line block ×4, first 2 shown]
	v_add3_u32 v0, v0, v2, v122
	v_add_f64 v[20:21], v[34:35], -v[20:21]
	v_add_f64 v[22:23], v[36:37], -v[22:23]
	v_add_f64 v[48:49], v[68:69], v[70:71]
	v_add_f64 v[70:71], v[124:125], -v[58:59]
	v_add_f64 v[72:73], v[126:127], -v[60:61]
	;; [unrolled: 1-line block ×4, first 2 shown]
	ds_write_b128 v0, v[30:33]
	ds_write_b128 v0, v[54:57] offset:160
	ds_write_b128 v0, v[8:11] offset:320
	;; [unrolled: 1-line block ×3, first 2 shown]
	v_mad_u32_u24 v0, v112, s0, 0
	v_lshlrev_b32_sdwa v2, v1, v113 dst_sel:DWORD dst_unused:UNUSED_PAD src0_sel:DWORD src1_sel:BYTE_0
	v_fma_f64 v[34:35], v[34:35], 2.0, -v[20:21]
	v_fma_f64 v[36:37], v[36:37], 2.0, -v[22:23]
	v_add_f64 v[46:47], v[66:67], -v[46:47]
	v_fma_f64 v[58:59], v[124:125], 2.0, -v[70:71]
	v_fma_f64 v[60:61], v[126:127], 2.0, -v[72:73]
	;; [unrolled: 1-line block ×4, first 2 shown]
	v_add3_u32 v0, v0, v2, v122
	v_fma_f64 v[66:67], v[66:67], 2.0, -v[46:47]
	v_fma_f64 v[68:69], v[68:69], 2.0, -v[48:49]
	v_add_f64 v[16:17], v[58:59], -v[16:17]
	v_add_f64 v[18:19], v[60:61], -v[18:19]
	ds_write_b128 v0, v[34:37]
	ds_write_b128 v0, v[66:69] offset:160
	ds_write_b128 v0, v[20:23] offset:320
	ds_write_b128 v0, v[46:49] offset:480
	v_mad_u32_u24 v0, v110, s0, 0
	v_lshlrev_b32_sdwa v1, v1, v111 dst_sel:DWORD dst_unused:UNUSED_PAD src0_sel:DWORD src1_sel:BYTE_0
	v_fma_f64 v[58:59], v[58:59], 2.0, -v[16:17]
	v_fma_f64 v[60:61], v[60:61], 2.0, -v[18:19]
	v_add_f64 v[62:63], v[70:71], -v[62:63]
	v_add_f64 v[64:65], v[72:73], v[114:115]
	v_add3_u32 v0, v0, v1, v122
	v_fma_f64 v[70:71], v[70:71], 2.0, -v[62:63]
	v_fma_f64 v[72:73], v[72:73], 2.0, -v[64:65]
	ds_write_b128 v0, v[58:61]
	ds_write_b128 v0, v[70:73] offset:160
	ds_write_b128 v0, v[16:19] offset:320
	;; [unrolled: 1-line block ×3, first 2 shown]
	v_mul_u32_u24_e32 v0, 3, v82
	v_lshlrev_b32_e32 v54, 4, v0
	s_waitcnt lgkmcnt(0)
	; wave barrier
	s_waitcnt lgkmcnt(0)
	global_load_dwordx4 v[8:11], v54, s[8:9] offset:480
	global_load_dwordx4 v[4:7], v54, s[8:9] offset:496
	;; [unrolled: 1-line block ×3, first 2 shown]
	v_mul_i32_i24_e32 v24, 3, v98
	v_lshl_add_u64 v[26:27], v[24:25], 4, s[8:9]
	global_load_dwordx4 v[20:23], v[26:27], off offset:480
	global_load_dwordx4 v[16:19], v[26:27], off offset:496
	;; [unrolled: 1-line block ×3, first 2 shown]
	v_add_u32_e32 v24, -8, v82
	v_cmp_gt_u32_e64 s[0:1], 40, v102
	s_nop 1
	v_cndmask_b32_e64 v56, v24, v102, s[0:1]
	v_mul_i32_i24_e32 v24, 3, v56
	v_lshl_add_u64 v[36:37], v[24:25], 4, s[8:9]
	global_load_dwordx4 v[32:35], v[36:37], off offset:480
	global_load_dwordx4 v[28:31], v[36:37], off offset:496
	;; [unrolled: 1-line block ×3, first 2 shown]
	global_load_dwordx4 v[38:41], v54, s[8:9] offset:864
	global_load_dwordx4 v[42:45], v54, s[8:9] offset:880
	;; [unrolled: 1-line block ×6, first 2 shown]
	ds_read_b128 v[66:69], v78
	ds_read_b128 v[70:73], v119
	ds_read_b128 v[108:111], v121 offset:2560
	ds_read_b128 v[112:115], v121 offset:3840
	v_cmp_lt_u32_e64 s[0:1], 39, v102
	s_waitcnt vmcnt(14) lgkmcnt(3)
	v_mul_f64 v[36:37], v[68:69], v[10:11]
	v_mul_f64 v[54:55], v[66:67], v[10:11]
	v_fma_f64 v[36:37], v[66:67], v[8:9], -v[36:37]
	v_fmac_f64_e32 v[54:55], v[68:69], v[8:9]
	s_waitcnt vmcnt(13) lgkmcnt(1)
	v_mul_f64 v[66:67], v[110:111], v[6:7]
	v_mul_f64 v[68:69], v[108:109], v[6:7]
	v_fma_f64 v[66:67], v[108:109], v[4:5], -v[66:67]
	v_fmac_f64_e32 v[68:69], v[110:111], v[4:5]
	ds_read_b128 v[4:7], v77
	s_waitcnt vmcnt(12) lgkmcnt(1)
	v_mul_f64 v[108:109], v[114:115], v[2:3]
	v_mul_f64 v[110:111], v[112:113], v[2:3]
	v_fma_f64 v[108:109], v[112:113], v[0:1], -v[108:109]
	v_fmac_f64_e32 v[110:111], v[114:115], v[0:1]
	ds_read_b128 v[0:3], v121 offset:2816
	s_waitcnt vmcnt(11) lgkmcnt(1)
	v_mul_f64 v[112:113], v[6:7], v[22:23]
	v_mul_f64 v[114:115], v[4:5], v[22:23]
	v_fma_f64 v[112:113], v[4:5], v[20:21], -v[112:113]
	v_fmac_f64_e32 v[114:115], v[6:7], v[20:21]
	ds_read_b128 v[4:7], v121 offset:4096
	s_waitcnt vmcnt(10) lgkmcnt(1)
	v_mul_f64 v[20:21], v[2:3], v[18:19]
	v_mul_f64 v[124:125], v[0:1], v[18:19]
	ds_read_b128 v[8:11], v106
	v_fma_f64 v[116:117], v[0:1], v[16:17], -v[20:21]
	v_fmac_f64_e32 v[124:125], v[2:3], v[16:17]
	ds_read_b128 v[0:3], v76
	s_waitcnt vmcnt(9) lgkmcnt(2)
	v_mul_f64 v[16:17], v[6:7], v[14:15]
	v_mul_f64 v[128:129], v[4:5], v[14:15]
	v_fma_f64 v[126:127], v[4:5], v[12:13], -v[16:17]
	v_fmac_f64_e32 v[128:129], v[6:7], v[12:13]
	ds_read_b128 v[4:7], v121 offset:3072
	s_waitcnt vmcnt(8) lgkmcnt(1)
	v_mul_f64 v[12:13], v[2:3], v[34:35]
	v_mul_f64 v[34:35], v[0:1], v[34:35]
	v_fma_f64 v[130:131], v[0:1], v[32:33], -v[12:13]
	v_fmac_f64_e32 v[34:35], v[2:3], v[32:33]
	ds_read_b128 v[0:3], v121 offset:4352
	s_waitcnt vmcnt(7) lgkmcnt(1)
	v_mul_f64 v[12:13], v[6:7], v[30:31]
	v_fma_f64 v[32:33], v[4:5], v[28:29], -v[12:13]
	v_mul_f64 v[30:31], v[4:5], v[30:31]
	v_fmac_f64_e32 v[30:31], v[6:7], v[28:29]
	s_waitcnt vmcnt(6) lgkmcnt(0)
	v_mul_f64 v[4:5], v[2:3], v[26:27]
	v_mul_f64 v[26:27], v[0:1], v[26:27]
	v_fma_f64 v[28:29], v[0:1], v[24:25], -v[4:5]
	v_fmac_f64_e32 v[26:27], v[2:3], v[24:25]
	ds_read_b128 v[0:3], v121 offset:3328
	ds_read_b128 v[12:15], v75
	v_add_f64 v[26:27], v[34:35], -v[26:27]
	v_add_f64 v[28:29], v[130:131], -v[28:29]
	s_waitcnt vmcnt(4) lgkmcnt(1)
	v_mul_f64 v[16:17], v[2:3], v[44:45]
	v_fma_f64 v[24:25], v[0:1], v[42:43], -v[16:17]
	ds_read_b128 v[16:19], v74
	s_waitcnt lgkmcnt(1)
	v_mul_f64 v[4:5], v[14:15], v[40:41]
	v_mul_f64 v[6:7], v[12:13], v[40:41]
	v_fma_f64 v[4:5], v[12:13], v[38:39], -v[4:5]
	v_fmac_f64_e32 v[6:7], v[14:15], v[38:39]
	ds_read_b128 v[12:15], v121 offset:4608
	v_mul_f64 v[132:133], v[0:1], v[44:45]
	v_fmac_f64_e32 v[132:133], v[2:3], v[42:43]
	s_waitcnt vmcnt(2) lgkmcnt(1)
	v_mul_f64 v[2:3], v[16:17], v[52:53]
	v_fmac_f64_e32 v[2:3], v[18:19], v[50:51]
	s_waitcnt lgkmcnt(0)
	v_mul_f64 v[0:1], v[14:15], v[48:49]
	v_mul_f64 v[136:137], v[12:13], v[48:49]
	v_fma_f64 v[134:135], v[12:13], v[46:47], -v[0:1]
	v_fmac_f64_e32 v[136:137], v[14:15], v[46:47]
	ds_read_b128 v[12:15], v121 offset:3584
	v_mul_f64 v[0:1], v[18:19], v[52:53]
	v_fma_f64 v[0:1], v[16:17], v[50:51], -v[0:1]
	ds_read_b128 v[16:19], v121 offset:4864
	v_add_f64 v[38:39], v[70:71], -v[66:67]
	s_waitcnt vmcnt(1) lgkmcnt(1)
	v_mul_f64 v[20:21], v[14:15], v[60:61]
	v_mul_f64 v[140:141], v[12:13], v[60:61]
	v_add_f64 v[46:47], v[36:37], -v[108:109]
	v_fma_f64 v[138:139], v[12:13], v[58:59], -v[20:21]
	v_fmac_f64_e32 v[140:141], v[14:15], v[58:59]
	ds_read_b128 v[12:15], v105
	v_fma_f64 v[42:43], v[70:71], 2.0, -v[38:39]
	v_add_f64 v[48:49], v[54:55], -v[110:111]
	v_fma_f64 v[36:37], v[36:37], 2.0, -v[46:47]
	s_waitcnt vmcnt(0) lgkmcnt(1)
	v_mul_f64 v[20:21], v[18:19], v[64:65]
	v_mul_f64 v[144:145], v[16:17], v[64:65]
	v_add_f64 v[40:41], v[72:73], -v[68:69]
	v_add_f64 v[58:59], v[42:43], -v[36:37]
	;; [unrolled: 1-line block ×3, first 2 shown]
	v_fma_f64 v[142:143], v[16:17], v[62:63], -v[20:21]
	v_fmac_f64_e32 v[144:145], v[18:19], v[62:63]
	v_fma_f64 v[44:45], v[72:73], 2.0, -v[40:41]
	v_fma_f64 v[50:51], v[54:55], 2.0, -v[48:49]
	;; [unrolled: 1-line block ×3, first 2 shown]
	v_add_f64 v[68:69], v[40:41], v[46:47]
	v_fma_f64 v[70:71], v[38:39], 2.0, -v[66:67]
	v_add_f64 v[38:39], v[10:11], -v[124:125]
	v_add_f64 v[42:43], v[114:115], -v[128:129]
	ds_read_b128 v[16:19], v104
	ds_read_b128 v[20:23], v79
	v_add_f64 v[60:61], v[44:45], -v[50:51]
	v_fma_f64 v[72:73], v[40:41], 2.0, -v[68:69]
	v_add_f64 v[36:37], v[8:9], -v[116:117]
	v_fma_f64 v[10:11], v[10:11], 2.0, -v[38:39]
	;; [unrolled: 2-line block ×3, first 2 shown]
	v_fma_f64 v[64:65], v[44:45], 2.0, -v[60:61]
	v_fma_f64 v[8:9], v[8:9], 2.0, -v[36:37]
	;; [unrolled: 1-line block ×3, first 2 shown]
	v_add_f64 v[54:55], v[10:11], -v[46:47]
	v_add_f64 v[52:53], v[8:9], -v[44:45]
	v_fma_f64 v[110:111], v[10:11], 2.0, -v[54:55]
	s_waitcnt lgkmcnt(2)
	v_add_f64 v[10:11], v[14:15], -v[30:31]
	v_fma_f64 v[108:109], v[8:9], 2.0, -v[52:53]
	v_add_f64 v[50:51], v[38:39], v[40:41]
	v_add_f64 v[8:9], v[12:13], -v[32:33]
	v_fma_f64 v[14:15], v[14:15], 2.0, -v[10:11]
	v_fma_f64 v[32:33], v[34:35], 2.0, -v[26:27]
	;; [unrolled: 1-line block ×3, first 2 shown]
	v_add_f64 v[38:39], v[14:15], -v[32:33]
	v_add_f64 v[32:33], v[8:9], -v[26:27]
	v_add_f64 v[34:35], v[10:11], v[28:29]
	s_waitcnt lgkmcnt(1)
	v_add_f64 v[24:25], v[16:17], -v[24:25]
	v_add_f64 v[26:27], v[18:19], -v[132:133]
	;; [unrolled: 1-line block ×3, first 2 shown]
	v_fma_f64 v[12:13], v[12:13], 2.0, -v[8:9]
	v_fma_f64 v[30:31], v[130:131], 2.0, -v[28:29]
	;; [unrolled: 1-line block ×6, first 2 shown]
	v_add_f64 v[16:17], v[4:5], -v[134:135]
	v_add_f64 v[18:19], v[6:7], -v[136:137]
	v_fma_f64 v[112:113], v[36:37], 2.0, -v[48:49]
	v_add_f64 v[36:37], v[12:13], -v[30:31]
	v_fma_f64 v[4:5], v[4:5], 2.0, -v[16:17]
	v_fma_f64 v[6:7], v[6:7], 2.0, -v[18:19]
	;; [unrolled: 1-line block ×4, first 2 shown]
	v_add_f64 v[12:13], v[8:9], -v[4:5]
	v_add_f64 v[14:15], v[10:11], -v[6:7]
	s_waitcnt lgkmcnt(0)
	; wave barrier
	s_waitcnt lgkmcnt(0)
	ds_write_b128 v121, v[62:65]
	ds_write_b128 v121, v[70:73] offset:640
	ds_write_b128 v121, v[58:61] offset:1280
	;; [unrolled: 1-line block ×3, first 2 shown]
	ds_write_b128 v106, v[108:111]
	ds_write_b128 v106, v[112:115] offset:640
	ds_write_b128 v106, v[52:55] offset:1280
	;; [unrolled: 1-line block ×3, first 2 shown]
	v_mov_b32_e32 v48, 0xa00
	v_fma_f64 v[28:29], v[8:9], 2.0, -v[12:13]
	v_fma_f64 v[30:31], v[10:11], 2.0, -v[14:15]
	v_add_f64 v[8:9], v[24:25], -v[18:19]
	v_add_f64 v[10:11], v[26:27], v[16:17]
	v_add_f64 v[16:17], v[20:21], -v[138:139]
	v_add_f64 v[18:19], v[22:23], -v[140:141]
	;; [unrolled: 1-line block ×4, first 2 shown]
	v_cndmask_b32_e64 v48, 0, v48, s[0:1]
	v_fma_f64 v[20:21], v[20:21], 2.0, -v[16:17]
	v_fma_f64 v[22:23], v[22:23], 2.0, -v[18:19]
	;; [unrolled: 1-line block ×4, first 2 shown]
	v_add_u32_e32 v48, 0, v48
	v_lshlrev_b32_e32 v49, 4, v56
	v_add_f64 v[4:5], v[20:21], -v[0:1]
	v_add_f64 v[6:7], v[22:23], -v[2:3]
	;; [unrolled: 1-line block ×3, first 2 shown]
	v_add_f64 v[2:3], v[18:19], v[116:117]
	v_add3_u32 v48, v48, v49, v122
	v_fma_f64 v[24:25], v[24:25], 2.0, -v[8:9]
	v_fma_f64 v[26:27], v[26:27], 2.0, -v[10:11]
	;; [unrolled: 1-line block ×6, first 2 shown]
	ds_write_b128 v48, v[44:47]
	ds_write_b128 v48, v[40:43] offset:640
	ds_write_b128 v48, v[36:39] offset:1280
	;; [unrolled: 1-line block ×11, first 2 shown]
	v_lshl_add_u64 v[0:1], v[82:83], 4, s[8:9]
	s_waitcnt lgkmcnt(0)
	; wave barrier
	s_waitcnt lgkmcnt(0)
	global_load_dwordx4 v[0:3], v[0:1], off offset:2400
	v_lshl_add_u64 v[4:5], v[98:99], 4, s[8:9]
	global_load_dwordx4 v[4:7], v[4:5], off offset:2400
	v_lshl_add_u64 v[8:9], v[102:103], 4, s[8:9]
	;; [unrolled: 2-line block ×9, first 2 shown]
	global_load_dwordx4 v[36:39], v[36:37], off offset:2400
	ds_read_b128 v[40:43], v119
	ds_read_b128 v[44:47], v121 offset:2560
	ds_read_b128 v[48:51], v106
	ds_read_b128 v[52:55], v121 offset:2816
	ds_read_b128 v[56:59], v105
	ds_read_b128 v[60:63], v121 offset:3072
	ds_read_b128 v[64:67], v104
	ds_read_b128 v[68:71], v121 offset:3328
	ds_read_b128 v[108:111], v79
	ds_read_b128 v[112:115], v121 offset:3584
	v_cmp_ne_u32_e64 s[0:1], 0, v82
	s_waitcnt vmcnt(9) lgkmcnt(8)
	v_mul_f64 v[72:73], v[46:47], v[2:3]
	v_fma_f64 v[72:73], v[44:45], v[0:1], -v[72:73]
	v_mul_f64 v[44:45], v[44:45], v[2:3]
	v_fmac_f64_e32 v[44:45], v[46:47], v[0:1]
	s_waitcnt vmcnt(8) lgkmcnt(6)
	v_mul_f64 v[46:47], v[54:55], v[6:7]
	v_fma_f64 v[46:47], v[52:53], v[4:5], -v[46:47]
	v_mul_f64 v[52:53], v[52:53], v[6:7]
	v_fmac_f64_e32 v[52:53], v[54:55], v[4:5]
	s_waitcnt vmcnt(7) lgkmcnt(4)
	v_mul_f64 v[54:55], v[62:63], v[10:11]
	ds_read_b128 v[0:3], v78
	ds_read_b128 v[4:7], v121 offset:3840
	v_fma_f64 v[54:55], v[60:61], v[8:9], -v[54:55]
	v_mul_f64 v[60:61], v[60:61], v[10:11]
	v_fmac_f64_e32 v[60:61], v[62:63], v[8:9]
	s_waitcnt vmcnt(6) lgkmcnt(4)
	v_mul_f64 v[62:63], v[70:71], v[14:15]
	v_fma_f64 v[62:63], v[68:69], v[12:13], -v[62:63]
	v_mul_f64 v[68:69], v[68:69], v[14:15]
	v_fmac_f64_e32 v[68:69], v[70:71], v[12:13]
	s_waitcnt vmcnt(5) lgkmcnt(2)
	v_mul_f64 v[70:71], v[114:115], v[18:19]
	v_fma_f64 v[70:71], v[112:113], v[16:17], -v[70:71]
	v_mul_f64 v[112:113], v[112:113], v[18:19]
	ds_read_b128 v[12:15], v121 offset:4096
	v_fmac_f64_e32 v[112:113], v[114:115], v[16:17]
	s_waitcnt vmcnt(4) lgkmcnt(1)
	v_mul_f64 v[114:115], v[6:7], v[22:23]
	v_mul_f64 v[116:117], v[4:5], v[22:23]
	v_fma_f64 v[114:115], v[4:5], v[20:21], -v[114:115]
	v_fmac_f64_e32 v[116:117], v[6:7], v[20:21]
	ds_read_b128 v[4:7], v121 offset:4352
	s_waitcnt vmcnt(3) lgkmcnt(1)
	v_mul_f64 v[20:21], v[14:15], v[26:27]
	v_mul_f64 v[124:125], v[12:13], v[26:27]
	v_fma_f64 v[122:123], v[12:13], v[24:25], -v[20:21]
	v_fmac_f64_e32 v[124:125], v[14:15], v[24:25]
	ds_read_b128 v[12:15], v121 offset:4608
	;; [unrolled: 6-line block ×3, first 2 shown]
	s_waitcnt vmcnt(1) lgkmcnt(1)
	v_mul_f64 v[20:21], v[14:15], v[34:35]
	v_fma_f64 v[130:131], v[12:13], v[32:33], -v[20:21]
	v_mul_f64 v[132:133], v[12:13], v[34:35]
	ds_read_b128 v[8:11], v77
	ds_read_b128 v[16:19], v76
	s_waitcnt vmcnt(0) lgkmcnt(2)
	v_mul_f64 v[20:21], v[6:7], v[38:39]
	v_fmac_f64_e32 v[132:133], v[14:15], v[32:33]
	ds_read_b128 v[12:15], v75
	v_fma_f64 v[134:135], v[4:5], v[36:37], -v[20:21]
	ds_read_b128 v[20:23], v74
	v_mul_f64 v[136:137], v[4:5], v[38:39]
	v_add_f64 v[24:25], v[40:41], -v[72:73]
	v_add_f64 v[26:27], v[42:43], -v[44:45]
	;; [unrolled: 1-line block ×4, first 2 shown]
	v_fmac_f64_e32 v[136:137], v[6:7], v[36:37]
	v_fma_f64 v[28:29], v[40:41], 2.0, -v[24:25]
	v_fma_f64 v[30:31], v[42:43], 2.0, -v[26:27]
	;; [unrolled: 1-line block ×4, first 2 shown]
	v_add_f64 v[40:41], v[56:57], -v[54:55]
	v_add_f64 v[42:43], v[58:59], -v[60:61]
	v_add_f64 v[48:49], v[64:65], -v[62:63]
	v_add_f64 v[50:51], v[66:67], -v[68:69]
	v_fma_f64 v[44:45], v[56:57], 2.0, -v[40:41]
	v_fma_f64 v[46:47], v[58:59], 2.0, -v[42:43]
	;; [unrolled: 1-line block ×4, first 2 shown]
	v_add_f64 v[56:57], v[108:109], -v[70:71]
	v_add_f64 v[58:59], v[110:111], -v[112:113]
	;; [unrolled: 1-line block ×4, first 2 shown]
	v_fma_f64 v[60:61], v[108:109], 2.0, -v[56:57]
	v_fma_f64 v[62:63], v[110:111], 2.0, -v[58:59]
	;; [unrolled: 1-line block ×4, first 2 shown]
	s_waitcnt lgkmcnt(3)
	v_add_f64 v[108:109], v[8:9], -v[122:123]
	v_add_f64 v[110:111], v[10:11], -v[124:125]
	s_waitcnt lgkmcnt(2)
	v_add_f64 v[112:113], v[16:17], -v[126:127]
	v_add_f64 v[114:115], v[18:19], -v[128:129]
	;; [unrolled: 3-line block ×4, first 2 shown]
	v_fma_f64 v[8:9], v[8:9], 2.0, -v[108:109]
	v_fma_f64 v[10:11], v[10:11], 2.0, -v[110:111]
	;; [unrolled: 1-line block ×8, first 2 shown]
	s_waitcnt lgkmcnt(0)
	; wave barrier
	ds_write_b128 v121, v[28:31]
	ds_write_b128 v121, v[24:27] offset:2560
	ds_write_b128 v106, v[36:39]
	ds_write_b128 v106, v[32:35] offset:2560
	;; [unrolled: 2-line block ×10, first 2 shown]
	s_waitcnt lgkmcnt(0)
	; wave barrier
	s_waitcnt lgkmcnt(0)
	ds_read_b128 v[4:7], v119
	v_sub_u32_e32 v12, v118, v120
                                        ; implicit-def: $vgpr0_vgpr1
                                        ; implicit-def: $vgpr8_vgpr9
                                        ; implicit-def: $vgpr10_vgpr11
	s_and_saveexec_b64 s[8:9], s[0:1]
	s_xor_b64 s[0:1], exec, s[8:9]
	s_cbranch_execz .LBB0_15
; %bb.14:
	v_lshl_add_u64 v[0:1], v[82:83], 4, s[4:5]
	global_load_dwordx4 v[14:17], v[0:1], off
	ds_read_b128 v[0:3], v12 offset:5120
	s_waitcnt lgkmcnt(0)
	v_add_f64 v[18:19], v[4:5], v[0:1]
	v_add_f64 v[0:1], v[4:5], -v[0:1]
	v_add_f64 v[8:9], v[6:7], v[2:3]
	v_add_f64 v[2:3], v[6:7], -v[2:3]
	v_mul_f64 v[6:7], v[0:1], 0.5
	v_mul_f64 v[4:5], v[8:9], 0.5
	;; [unrolled: 1-line block ×3, first 2 shown]
	s_waitcnt vmcnt(0)
	v_mul_f64 v[2:3], v[6:7], v[16:17]
	v_fma_f64 v[10:11], v[4:5], v[16:17], v[0:1]
	v_fma_f64 v[16:17], v[4:5], v[16:17], -v[0:1]
	v_fma_f64 v[8:9], 0.5, v[18:19], v[2:3]
	v_fma_f64 v[0:1], v[18:19], 0.5, -v[2:3]
	v_fma_f64 v[10:11], -v[14:15], v[6:7], v[10:11]
	v_fmac_f64_e32 v[8:9], v[4:5], v[14:15]
	v_fma_f64 v[0:1], -v[4:5], v[14:15], v[0:1]
	v_fma_f64 v[2:3], -v[14:15], v[6:7], v[16:17]
                                        ; implicit-def: $vgpr4_vgpr5
.LBB0_15:
	s_andn2_saveexec_b64 s[0:1], s[0:1]
	s_cbranch_execz .LBB0_17
; %bb.16:
	ds_read_b64 v[2:3], v118 offset:2568
	v_mov_b64_e32 v[10:11], 0
	s_waitcnt lgkmcnt(1)
	v_add_f64 v[8:9], v[4:5], v[6:7]
	v_add_f64 v[0:1], v[4:5], -v[6:7]
	s_waitcnt lgkmcnt(0)
	v_xor_b32_e32 v3, 0x80000000, v3
	ds_write_b64 v118, v[2:3] offset:2568
	v_mov_b64_e32 v[2:3], v[10:11]
.LBB0_17:
	s_or_b64 exec, exec, s[0:1]
	s_waitcnt lgkmcnt(0)
	v_lshl_add_u64 v[4:5], v[98:99], 4, s[4:5]
	global_load_dwordx4 v[4:7], v[4:5], off
	v_lshl_add_u64 v[14:15], v[102:103], 4, s[4:5]
	global_load_dwordx4 v[14:17], v[14:15], off
	;; [unrolled: 2-line block ×3, first 2 shown]
	ds_write2_b64 v119, v[8:9], v[10:11] offset1:1
	ds_write_b128 v12, v[0:3] offset:5120
	v_lshl_add_u32 v13, v98, 4, v118
	v_lshl_add_u64 v[22:23], v[96:97], 4, s[4:5]
	ds_read_b128 v[0:3], v13
	ds_read_b128 v[8:11], v12 offset:4864
	global_load_dwordx4 v[22:25], v[22:23], off
	s_waitcnt lgkmcnt(0)
	v_add_f64 v[26:27], v[0:1], v[8:9]
	v_add_f64 v[0:1], v[0:1], -v[8:9]
	v_add_f64 v[28:29], v[2:3], v[10:11]
	v_add_f64 v[2:3], v[2:3], -v[10:11]
	v_mul_f64 v[0:1], v[0:1], 0.5
	v_mul_f64 v[8:9], v[28:29], 0.5
	v_mul_f64 v[2:3], v[2:3], 0.5
	s_waitcnt vmcnt(3)
	v_mul_f64 v[10:11], v[0:1], v[6:7]
	v_fma_f64 v[28:29], v[8:9], v[6:7], v[2:3]
	v_fma_f64 v[2:3], v[8:9], v[6:7], -v[2:3]
	v_fma_f64 v[6:7], 0.5, v[26:27], v[10:11]
	v_fma_f64 v[28:29], -v[4:5], v[0:1], v[28:29]
	v_fma_f64 v[10:11], v[26:27], 0.5, -v[10:11]
	v_fmac_f64_e32 v[6:7], v[8:9], v[4:5]
	v_fma_f64 v[2:3], -v[4:5], v[0:1], v[2:3]
	v_fma_f64 v[0:1], -v[8:9], v[4:5], v[10:11]
	ds_write2_b64 v13, v[6:7], v[28:29] offset1:1
	ds_write_b128 v12, v[0:3] offset:4864
	v_lshl_add_u64 v[8:9], v[94:95], 4, s[4:5]
	ds_read_b128 v[0:3], v105
	ds_read_b128 v[4:7], v12 offset:4608
	global_load_dwordx4 v[8:11], v[8:9], off
	s_waitcnt lgkmcnt(0)
	v_add_f64 v[26:27], v[0:1], v[4:5]
	v_add_f64 v[0:1], v[0:1], -v[4:5]
	v_add_f64 v[28:29], v[2:3], v[6:7]
	v_add_f64 v[2:3], v[2:3], -v[6:7]
	v_mul_f64 v[0:1], v[0:1], 0.5
	v_mul_f64 v[4:5], v[28:29], 0.5
	v_mul_f64 v[2:3], v[2:3], 0.5
	s_waitcnt vmcnt(3)
	v_mul_f64 v[6:7], v[0:1], v[16:17]
	v_fma_f64 v[28:29], v[4:5], v[16:17], v[2:3]
	v_fma_f64 v[2:3], v[4:5], v[16:17], -v[2:3]
	v_fma_f64 v[16:17], 0.5, v[26:27], v[6:7]
	v_fma_f64 v[28:29], -v[14:15], v[0:1], v[28:29]
	v_fma_f64 v[6:7], v[26:27], 0.5, -v[6:7]
	v_fmac_f64_e32 v[16:17], v[4:5], v[14:15]
	v_fma_f64 v[2:3], -v[14:15], v[0:1], v[2:3]
	v_fma_f64 v[0:1], -v[4:5], v[14:15], v[6:7]
	ds_write2_b64 v105, v[16:17], v[28:29] offset1:1
	ds_write_b128 v12, v[0:3] offset:4608
	;; [unrolled: 24-line block ×6, first 2 shown]
	ds_read_b128 v[0:3], v76
	ds_read_b128 v[4:7], v12 offset:3328
	s_waitcnt lgkmcnt(0)
	v_add_f64 v[14:15], v[0:1], v[4:5]
	v_add_f64 v[0:1], v[0:1], -v[4:5]
	v_add_f64 v[16:17], v[2:3], v[6:7]
	v_add_f64 v[2:3], v[2:3], -v[6:7]
	v_mul_f64 v[6:7], v[0:1], 0.5
	v_mul_f64 v[4:5], v[16:17], 0.5
	v_mul_f64 v[2:3], v[2:3], 0.5
	s_waitcnt vmcnt(2)
	v_mul_f64 v[0:1], v[6:7], v[20:21]
	v_fma_f64 v[16:17], 0.5, v[14:15], v[0:1]
	v_fma_f64 v[26:27], v[4:5], v[20:21], v[2:3]
	v_fmac_f64_e32 v[16:17], v[4:5], v[18:19]
	v_fma_f64 v[26:27], -v[18:19], v[6:7], v[26:27]
	v_fma_f64 v[0:1], v[14:15], 0.5, -v[0:1]
	v_fma_f64 v[2:3], v[4:5], v[20:21], -v[2:3]
	v_fma_f64 v[0:1], -v[4:5], v[18:19], v[0:1]
	v_fma_f64 v[2:3], -v[18:19], v[6:7], v[2:3]
	ds_write2_b64 v76, v[16:17], v[26:27] offset1:1
	ds_write_b128 v12, v[0:3] offset:3328
	ds_read_b128 v[0:3], v75
	ds_read_b128 v[4:7], v12 offset:3072
	s_waitcnt lgkmcnt(0)
	v_add_f64 v[14:15], v[0:1], v[4:5]
	v_add_f64 v[0:1], v[0:1], -v[4:5]
	v_add_f64 v[16:17], v[2:3], v[6:7]
	v_add_f64 v[2:3], v[2:3], -v[6:7]
	v_mul_f64 v[4:5], v[0:1], 0.5
	v_mul_f64 v[16:17], v[16:17], 0.5
	v_mul_f64 v[2:3], v[2:3], 0.5
	s_waitcnt vmcnt(1)
	v_mul_f64 v[0:1], v[4:5], v[24:25]
	v_fma_f64 v[6:7], 0.5, v[14:15], v[0:1]
	v_fma_f64 v[18:19], v[16:17], v[24:25], v[2:3]
	v_fmac_f64_e32 v[6:7], v[16:17], v[22:23]
	v_fma_f64 v[18:19], -v[22:23], v[4:5], v[18:19]
	v_fma_f64 v[0:1], v[14:15], 0.5, -v[0:1]
	v_fma_f64 v[2:3], v[16:17], v[24:25], -v[2:3]
	v_fma_f64 v[0:1], -v[16:17], v[22:23], v[0:1]
	v_fma_f64 v[2:3], -v[22:23], v[4:5], v[2:3]
	ds_write2_b64 v75, v[6:7], v[18:19] offset1:1
	ds_write_b128 v12, v[0:3] offset:3072
	;; [unrolled: 22-line block ×3, first 2 shown]
	s_waitcnt lgkmcnt(0)
	; wave barrier
	s_waitcnt lgkmcnt(0)
	s_and_saveexec_b64 s[0:1], vcc
	s_cbranch_execz .LBB0_20
; %bb.18:
	v_mul_lo_u32 v2, s3, v84
	v_mul_lo_u32 v3, s2, v85
	v_mad_u64_u32 v[0:1], s[0:1], s2, v84, 0
	v_add3_u32 v1, v1, v3, v2
	v_lshl_add_u32 v2, v82, 4, v118
	ds_read_b128 v[4:7], v2
	ds_read_b128 v[8:11], v2 offset:256
	v_lshl_add_u64 v[0:1], v[0:1], 4, s[6:7]
	v_mov_b32_e32 v83, 0
	v_lshl_add_u64 v[0:1], v[80:81], 4, v[0:1]
	v_lshl_add_u64 v[12:13], v[82:83], 4, v[0:1]
	s_waitcnt lgkmcnt(1)
	global_store_dwordx4 v[12:13], v[4:7], off
	v_cmp_eq_u32_e32 vcc, 15, v82
	s_nop 0
	v_add_u32_e32 v4, 16, v82
	v_mov_b32_e32 v5, v83
	v_lshl_add_u64 v[4:5], v[4:5], 4, v[0:1]
	s_waitcnt lgkmcnt(0)
	global_store_dwordx4 v[4:5], v[8:11], off
	ds_read_b128 v[4:7], v2 offset:512
	s_nop 0
	v_add_u32_e32 v8, 32, v82
	v_mov_b32_e32 v9, v83
	v_lshl_add_u64 v[12:13], v[8:9], 4, v[0:1]
	ds_read_b128 v[8:11], v2 offset:768
	s_waitcnt lgkmcnt(1)
	global_store_dwordx4 v[12:13], v[4:7], off
	s_nop 1
	v_add_u32_e32 v4, 48, v82
	v_mov_b32_e32 v5, v83
	v_lshl_add_u64 v[4:5], v[4:5], 4, v[0:1]
	s_waitcnt lgkmcnt(0)
	global_store_dwordx4 v[4:5], v[8:11], off
	ds_read_b128 v[4:7], v2 offset:1024
	s_nop 0
	v_add_u32_e32 v8, 64, v82
	v_mov_b32_e32 v9, v83
	v_lshl_add_u64 v[12:13], v[8:9], 4, v[0:1]
	ds_read_b128 v[8:11], v2 offset:1280
	s_waitcnt lgkmcnt(1)
	global_store_dwordx4 v[12:13], v[4:7], off
	;; [unrolled: 14-line block ×9, first 2 shown]
	s_nop 1
	v_add_u32_e32 v4, 0x130, v82
	v_mov_b32_e32 v5, v83
	v_lshl_add_u64 v[4:5], v[4:5], 4, v[0:1]
	s_waitcnt lgkmcnt(0)
	global_store_dwordx4 v[4:5], v[8:11], off
	s_and_b64 exec, exec, vcc
	s_cbranch_execz .LBB0_20
; %bb.19:
	ds_read_b128 v[2:5], v2 offset:4880
	v_add_co_u32_e32 v0, vcc, 0x1000, v0
	s_nop 1
	v_addc_co_u32_e32 v1, vcc, 0, v1, vcc
	s_waitcnt lgkmcnt(0)
	global_store_dwordx4 v[0:1], v[2:5], off offset:1024
.LBB0_20:
	s_endpgm
	.section	.rodata,"a",@progbits
	.p2align	6, 0x0
	.amdhsa_kernel fft_rtc_fwd_len320_factors_10_4_4_2_wgs_64_tpt_16_halfLds_dp_op_CI_CI_unitstride_sbrr_R2C_dirReg
		.amdhsa_group_segment_fixed_size 0
		.amdhsa_private_segment_fixed_size 0
		.amdhsa_kernarg_size 104
		.amdhsa_user_sgpr_count 2
		.amdhsa_user_sgpr_dispatch_ptr 0
		.amdhsa_user_sgpr_queue_ptr 0
		.amdhsa_user_sgpr_kernarg_segment_ptr 1
		.amdhsa_user_sgpr_dispatch_id 0
		.amdhsa_user_sgpr_kernarg_preload_length 0
		.amdhsa_user_sgpr_kernarg_preload_offset 0
		.amdhsa_user_sgpr_private_segment_size 0
		.amdhsa_uses_dynamic_stack 0
		.amdhsa_enable_private_segment 0
		.amdhsa_system_sgpr_workgroup_id_x 1
		.amdhsa_system_sgpr_workgroup_id_y 0
		.amdhsa_system_sgpr_workgroup_id_z 0
		.amdhsa_system_sgpr_workgroup_info 0
		.amdhsa_system_vgpr_workitem_id 0
		.amdhsa_next_free_vgpr 146
		.amdhsa_next_free_sgpr 28
		.amdhsa_accum_offset 148
		.amdhsa_reserve_vcc 1
		.amdhsa_float_round_mode_32 0
		.amdhsa_float_round_mode_16_64 0
		.amdhsa_float_denorm_mode_32 3
		.amdhsa_float_denorm_mode_16_64 3
		.amdhsa_dx10_clamp 1
		.amdhsa_ieee_mode 1
		.amdhsa_fp16_overflow 0
		.amdhsa_tg_split 0
		.amdhsa_exception_fp_ieee_invalid_op 0
		.amdhsa_exception_fp_denorm_src 0
		.amdhsa_exception_fp_ieee_div_zero 0
		.amdhsa_exception_fp_ieee_overflow 0
		.amdhsa_exception_fp_ieee_underflow 0
		.amdhsa_exception_fp_ieee_inexact 0
		.amdhsa_exception_int_div_zero 0
	.end_amdhsa_kernel
	.text
.Lfunc_end0:
	.size	fft_rtc_fwd_len320_factors_10_4_4_2_wgs_64_tpt_16_halfLds_dp_op_CI_CI_unitstride_sbrr_R2C_dirReg, .Lfunc_end0-fft_rtc_fwd_len320_factors_10_4_4_2_wgs_64_tpt_16_halfLds_dp_op_CI_CI_unitstride_sbrr_R2C_dirReg
                                        ; -- End function
	.section	.AMDGPU.csdata,"",@progbits
; Kernel info:
; codeLenInByte = 12184
; NumSgprs: 34
; NumVgprs: 146
; NumAgprs: 0
; TotalNumVgprs: 146
; ScratchSize: 0
; MemoryBound: 0
; FloatMode: 240
; IeeeMode: 1
; LDSByteSize: 0 bytes/workgroup (compile time only)
; SGPRBlocks: 4
; VGPRBlocks: 18
; NumSGPRsForWavesPerEU: 34
; NumVGPRsForWavesPerEU: 146
; AccumOffset: 148
; Occupancy: 3
; WaveLimiterHint : 1
; COMPUTE_PGM_RSRC2:SCRATCH_EN: 0
; COMPUTE_PGM_RSRC2:USER_SGPR: 2
; COMPUTE_PGM_RSRC2:TRAP_HANDLER: 0
; COMPUTE_PGM_RSRC2:TGID_X_EN: 1
; COMPUTE_PGM_RSRC2:TGID_Y_EN: 0
; COMPUTE_PGM_RSRC2:TGID_Z_EN: 0
; COMPUTE_PGM_RSRC2:TIDIG_COMP_CNT: 0
; COMPUTE_PGM_RSRC3_GFX90A:ACCUM_OFFSET: 36
; COMPUTE_PGM_RSRC3_GFX90A:TG_SPLIT: 0
	.text
	.p2alignl 6, 3212836864
	.fill 256, 4, 3212836864
	.type	__hip_cuid_a88a6387a657aedf,@object ; @__hip_cuid_a88a6387a657aedf
	.section	.bss,"aw",@nobits
	.globl	__hip_cuid_a88a6387a657aedf
__hip_cuid_a88a6387a657aedf:
	.byte	0                               ; 0x0
	.size	__hip_cuid_a88a6387a657aedf, 1

	.ident	"AMD clang version 19.0.0git (https://github.com/RadeonOpenCompute/llvm-project roc-6.4.0 25133 c7fe45cf4b819c5991fe208aaa96edf142730f1d)"
	.section	".note.GNU-stack","",@progbits
	.addrsig
	.addrsig_sym __hip_cuid_a88a6387a657aedf
	.amdgpu_metadata
---
amdhsa.kernels:
  - .agpr_count:     0
    .args:
      - .actual_access:  read_only
        .address_space:  global
        .offset:         0
        .size:           8
        .value_kind:     global_buffer
      - .offset:         8
        .size:           8
        .value_kind:     by_value
      - .actual_access:  read_only
        .address_space:  global
        .offset:         16
        .size:           8
        .value_kind:     global_buffer
      - .actual_access:  read_only
        .address_space:  global
        .offset:         24
        .size:           8
        .value_kind:     global_buffer
      - .actual_access:  read_only
        .address_space:  global
        .offset:         32
        .size:           8
        .value_kind:     global_buffer
      - .offset:         40
        .size:           8
        .value_kind:     by_value
      - .actual_access:  read_only
        .address_space:  global
        .offset:         48
        .size:           8
        .value_kind:     global_buffer
      - .actual_access:  read_only
        .address_space:  global
        .offset:         56
        .size:           8
        .value_kind:     global_buffer
      - .offset:         64
        .size:           4
        .value_kind:     by_value
      - .actual_access:  read_only
        .address_space:  global
        .offset:         72
        .size:           8
        .value_kind:     global_buffer
      - .actual_access:  read_only
        .address_space:  global
        .offset:         80
        .size:           8
        .value_kind:     global_buffer
      - .actual_access:  read_only
        .address_space:  global
        .offset:         88
        .size:           8
        .value_kind:     global_buffer
      - .actual_access:  write_only
        .address_space:  global
        .offset:         96
        .size:           8
        .value_kind:     global_buffer
    .group_segment_fixed_size: 0
    .kernarg_segment_align: 8
    .kernarg_segment_size: 104
    .language:       OpenCL C
    .language_version:
      - 2
      - 0
    .max_flat_workgroup_size: 64
    .name:           fft_rtc_fwd_len320_factors_10_4_4_2_wgs_64_tpt_16_halfLds_dp_op_CI_CI_unitstride_sbrr_R2C_dirReg
    .private_segment_fixed_size: 0
    .sgpr_count:     34
    .sgpr_spill_count: 0
    .symbol:         fft_rtc_fwd_len320_factors_10_4_4_2_wgs_64_tpt_16_halfLds_dp_op_CI_CI_unitstride_sbrr_R2C_dirReg.kd
    .uniform_work_group_size: 1
    .uses_dynamic_stack: false
    .vgpr_count:     146
    .vgpr_spill_count: 0
    .wavefront_size: 64
amdhsa.target:   amdgcn-amd-amdhsa--gfx950
amdhsa.version:
  - 1
  - 2
...

	.end_amdgpu_metadata
